;; amdgpu-corpus repo=ROCm/rocThrust kind=compiled arch=gfx1250 opt=O3
	.amdgcn_target "amdgcn-amd-amdhsa--gfx1250"
	.amdhsa_code_object_version 6
	.section	.text._ZN6thrust23THRUST_200600_302600_NS11hip_rocprim14__parallel_for6kernelILj256ENS1_11__transform18binary_transform_fINS0_6detail15normal_iteratorINS0_10device_ptrIfEEEESA_SA_NS4_14no_stencil_tagE13saxpy_functorNS4_21always_true_predicateEEElLj1EEEvT0_T1_SG_,"axG",@progbits,_ZN6thrust23THRUST_200600_302600_NS11hip_rocprim14__parallel_for6kernelILj256ENS1_11__transform18binary_transform_fINS0_6detail15normal_iteratorINS0_10device_ptrIfEEEESA_SA_NS4_14no_stencil_tagE13saxpy_functorNS4_21always_true_predicateEEElLj1EEEvT0_T1_SG_,comdat
	.protected	_ZN6thrust23THRUST_200600_302600_NS11hip_rocprim14__parallel_for6kernelILj256ENS1_11__transform18binary_transform_fINS0_6detail15normal_iteratorINS0_10device_ptrIfEEEESA_SA_NS4_14no_stencil_tagE13saxpy_functorNS4_21always_true_predicateEEElLj1EEEvT0_T1_SG_ ; -- Begin function _ZN6thrust23THRUST_200600_302600_NS11hip_rocprim14__parallel_for6kernelILj256ENS1_11__transform18binary_transform_fINS0_6detail15normal_iteratorINS0_10device_ptrIfEEEESA_SA_NS4_14no_stencil_tagE13saxpy_functorNS4_21always_true_predicateEEElLj1EEEvT0_T1_SG_
	.globl	_ZN6thrust23THRUST_200600_302600_NS11hip_rocprim14__parallel_for6kernelILj256ENS1_11__transform18binary_transform_fINS0_6detail15normal_iteratorINS0_10device_ptrIfEEEESA_SA_NS4_14no_stencil_tagE13saxpy_functorNS4_21always_true_predicateEEElLj1EEEvT0_T1_SG_
	.p2align	8
	.type	_ZN6thrust23THRUST_200600_302600_NS11hip_rocprim14__parallel_for6kernelILj256ENS1_11__transform18binary_transform_fINS0_6detail15normal_iteratorINS0_10device_ptrIfEEEESA_SA_NS4_14no_stencil_tagE13saxpy_functorNS4_21always_true_predicateEEElLj1EEEvT0_T1_SG_,@function
_ZN6thrust23THRUST_200600_302600_NS11hip_rocprim14__parallel_for6kernelILj256ENS1_11__transform18binary_transform_fINS0_6detail15normal_iteratorINS0_10device_ptrIfEEEESA_SA_NS4_14no_stencil_tagE13saxpy_functorNS4_21always_true_predicateEEElLj1EEEvT0_T1_SG_: ; @_ZN6thrust23THRUST_200600_302600_NS11hip_rocprim14__parallel_for6kernelILj256ENS1_11__transform18binary_transform_fINS0_6detail15normal_iteratorINS0_10device_ptrIfEEEESA_SA_NS4_14no_stencil_tagE13saxpy_functorNS4_21always_true_predicateEEElLj1EEEvT0_T1_SG_
; %bb.0:
	s_load_b128 s[4:7], s[0:1], 0x20
	s_bfe_u32 s2, ttmp6, 0x4000c
	s_and_b32 s3, ttmp6, 15
	s_add_co_i32 s2, s2, 1
	s_getreg_b32 s8, hwreg(HW_REG_IB_STS2, 6, 4)
	s_mul_i32 s2, ttmp9, s2
	s_delay_alu instid0(SALU_CYCLE_1)
	s_add_co_i32 s3, s3, s2
	s_cmp_eq_u32 s8, 0
	s_cselect_b32 s2, ttmp9, s3
	s_mov_b32 s3, 0
	s_lshl_b32 s2, s2, 8
	s_wait_kmcnt 0x0
	s_add_nc_u64 s[2:3], s[6:7], s[2:3]
	s_delay_alu instid0(SALU_CYCLE_1) | instskip(NEXT) | instid1(SALU_CYCLE_1)
	s_sub_nc_u64 s[4:5], s[4:5], s[2:3]
	v_min_i64 v[2:3], 0x100, s[4:5]
	s_clause 0x1
	s_load_b128 s[4:7], s[0:1], 0x0
	s_load_b96 s[8:10], s[0:1], 0x10
	s_wait_xcnt 0x0
	s_mov_b32 s0, -1
	s_delay_alu instid0(VALU_DEP_1)
	v_cmp_eq_u32_e32 vcc_lo, 0x100, v2
	s_cbranch_vccz .LBB0_3
; %bb.1:
	s_and_not1_b32 vcc_lo, exec_lo, s0
	s_cbranch_vccz .LBB0_6
.LBB0_2:
	s_endpgm
.LBB0_3:
	s_mov_b32 s0, exec_lo
	v_cmpx_lt_u32_e64 v0, v2
	s_cbranch_execz .LBB0_5
; %bb.4:
	v_mov_b32_e32 v1, 0
	s_delay_alu instid0(VALU_DEP_1) | instskip(NEXT) | instid1(VALU_DEP_1)
	v_add_nc_u64_e32 v[2:3], s[2:3], v[0:1]
	v_lshlrev_b64_e32 v[2:3], 2, v[2:3]
	s_wait_kmcnt 0x0
	s_delay_alu instid0(VALU_DEP_1)
	v_add_nc_u64_e32 v[4:5], s[4:5], v[2:3]
	v_add_nc_u64_e32 v[6:7], s[6:7], v[2:3]
	;; [unrolled: 1-line block ×3, first 2 shown]
	flat_load_b32 v1, v[4:5]
	flat_load_b32 v8, v[6:7]
	s_wait_loadcnt_dscnt 0x0
	v_fmac_f32_e32 v8, s10, v1
	flat_store_b32 v[2:3], v8
.LBB0_5:
	s_wait_xcnt 0x0
	s_or_b32 exec_lo, exec_lo, s0
	s_cbranch_execnz .LBB0_2
.LBB0_6:
	v_mov_b32_e32 v1, 0
	s_delay_alu instid0(VALU_DEP_1) | instskip(NEXT) | instid1(VALU_DEP_1)
	v_add_nc_u64_e32 v[0:1], s[2:3], v[0:1]
	v_lshlrev_b64_e32 v[0:1], 2, v[0:1]
	s_wait_kmcnt 0x0
	s_delay_alu instid0(VALU_DEP_1)
	v_add_nc_u64_e32 v[2:3], s[4:5], v[0:1]
	v_add_nc_u64_e32 v[4:5], s[6:7], v[0:1]
	v_add_nc_u64_e32 v[0:1], s[8:9], v[0:1]
	flat_load_b32 v6, v[2:3]
	flat_load_b32 v7, v[4:5]
	s_wait_loadcnt_dscnt 0x0
	v_fmac_f32_e32 v7, s10, v6
	flat_store_b32 v[0:1], v7
	s_endpgm
	.section	.rodata,"a",@progbits
	.p2align	6, 0x0
	.amdhsa_kernel _ZN6thrust23THRUST_200600_302600_NS11hip_rocprim14__parallel_for6kernelILj256ENS1_11__transform18binary_transform_fINS0_6detail15normal_iteratorINS0_10device_ptrIfEEEESA_SA_NS4_14no_stencil_tagE13saxpy_functorNS4_21always_true_predicateEEElLj1EEEvT0_T1_SG_
		.amdhsa_group_segment_fixed_size 0
		.amdhsa_private_segment_fixed_size 0
		.amdhsa_kernarg_size 48
		.amdhsa_user_sgpr_count 2
		.amdhsa_user_sgpr_dispatch_ptr 0
		.amdhsa_user_sgpr_queue_ptr 0
		.amdhsa_user_sgpr_kernarg_segment_ptr 1
		.amdhsa_user_sgpr_dispatch_id 0
		.amdhsa_user_sgpr_kernarg_preload_length 0
		.amdhsa_user_sgpr_kernarg_preload_offset 0
		.amdhsa_user_sgpr_private_segment_size 0
		.amdhsa_wavefront_size32 1
		.amdhsa_uses_dynamic_stack 0
		.amdhsa_enable_private_segment 0
		.amdhsa_system_sgpr_workgroup_id_x 1
		.amdhsa_system_sgpr_workgroup_id_y 0
		.amdhsa_system_sgpr_workgroup_id_z 0
		.amdhsa_system_sgpr_workgroup_info 0
		.amdhsa_system_vgpr_workitem_id 0
		.amdhsa_next_free_vgpr 9
		.amdhsa_next_free_sgpr 11
		.amdhsa_named_barrier_count 0
		.amdhsa_reserve_vcc 1
		.amdhsa_float_round_mode_32 0
		.amdhsa_float_round_mode_16_64 0
		.amdhsa_float_denorm_mode_32 3
		.amdhsa_float_denorm_mode_16_64 3
		.amdhsa_fp16_overflow 0
		.amdhsa_memory_ordered 1
		.amdhsa_forward_progress 1
		.amdhsa_inst_pref_size 3
		.amdhsa_round_robin_scheduling 0
		.amdhsa_exception_fp_ieee_invalid_op 0
		.amdhsa_exception_fp_denorm_src 0
		.amdhsa_exception_fp_ieee_div_zero 0
		.amdhsa_exception_fp_ieee_overflow 0
		.amdhsa_exception_fp_ieee_underflow 0
		.amdhsa_exception_fp_ieee_inexact 0
		.amdhsa_exception_int_div_zero 0
	.end_amdhsa_kernel
	.section	.text._ZN6thrust23THRUST_200600_302600_NS11hip_rocprim14__parallel_for6kernelILj256ENS1_11__transform18binary_transform_fINS0_6detail15normal_iteratorINS0_10device_ptrIfEEEESA_SA_NS4_14no_stencil_tagE13saxpy_functorNS4_21always_true_predicateEEElLj1EEEvT0_T1_SG_,"axG",@progbits,_ZN6thrust23THRUST_200600_302600_NS11hip_rocprim14__parallel_for6kernelILj256ENS1_11__transform18binary_transform_fINS0_6detail15normal_iteratorINS0_10device_ptrIfEEEESA_SA_NS4_14no_stencil_tagE13saxpy_functorNS4_21always_true_predicateEEElLj1EEEvT0_T1_SG_,comdat
.Lfunc_end0:
	.size	_ZN6thrust23THRUST_200600_302600_NS11hip_rocprim14__parallel_for6kernelILj256ENS1_11__transform18binary_transform_fINS0_6detail15normal_iteratorINS0_10device_ptrIfEEEESA_SA_NS4_14no_stencil_tagE13saxpy_functorNS4_21always_true_predicateEEElLj1EEEvT0_T1_SG_, .Lfunc_end0-_ZN6thrust23THRUST_200600_302600_NS11hip_rocprim14__parallel_for6kernelILj256ENS1_11__transform18binary_transform_fINS0_6detail15normal_iteratorINS0_10device_ptrIfEEEESA_SA_NS4_14no_stencil_tagE13saxpy_functorNS4_21always_true_predicateEEElLj1EEEvT0_T1_SG_
                                        ; -- End function
	.set _ZN6thrust23THRUST_200600_302600_NS11hip_rocprim14__parallel_for6kernelILj256ENS1_11__transform18binary_transform_fINS0_6detail15normal_iteratorINS0_10device_ptrIfEEEESA_SA_NS4_14no_stencil_tagE13saxpy_functorNS4_21always_true_predicateEEElLj1EEEvT0_T1_SG_.num_vgpr, 9
	.set _ZN6thrust23THRUST_200600_302600_NS11hip_rocprim14__parallel_for6kernelILj256ENS1_11__transform18binary_transform_fINS0_6detail15normal_iteratorINS0_10device_ptrIfEEEESA_SA_NS4_14no_stencil_tagE13saxpy_functorNS4_21always_true_predicateEEElLj1EEEvT0_T1_SG_.num_agpr, 0
	.set _ZN6thrust23THRUST_200600_302600_NS11hip_rocprim14__parallel_for6kernelILj256ENS1_11__transform18binary_transform_fINS0_6detail15normal_iteratorINS0_10device_ptrIfEEEESA_SA_NS4_14no_stencil_tagE13saxpy_functorNS4_21always_true_predicateEEElLj1EEEvT0_T1_SG_.numbered_sgpr, 11
	.set _ZN6thrust23THRUST_200600_302600_NS11hip_rocprim14__parallel_for6kernelILj256ENS1_11__transform18binary_transform_fINS0_6detail15normal_iteratorINS0_10device_ptrIfEEEESA_SA_NS4_14no_stencil_tagE13saxpy_functorNS4_21always_true_predicateEEElLj1EEEvT0_T1_SG_.num_named_barrier, 0
	.set _ZN6thrust23THRUST_200600_302600_NS11hip_rocprim14__parallel_for6kernelILj256ENS1_11__transform18binary_transform_fINS0_6detail15normal_iteratorINS0_10device_ptrIfEEEESA_SA_NS4_14no_stencil_tagE13saxpy_functorNS4_21always_true_predicateEEElLj1EEEvT0_T1_SG_.private_seg_size, 0
	.set _ZN6thrust23THRUST_200600_302600_NS11hip_rocprim14__parallel_for6kernelILj256ENS1_11__transform18binary_transform_fINS0_6detail15normal_iteratorINS0_10device_ptrIfEEEESA_SA_NS4_14no_stencil_tagE13saxpy_functorNS4_21always_true_predicateEEElLj1EEEvT0_T1_SG_.uses_vcc, 1
	.set _ZN6thrust23THRUST_200600_302600_NS11hip_rocprim14__parallel_for6kernelILj256ENS1_11__transform18binary_transform_fINS0_6detail15normal_iteratorINS0_10device_ptrIfEEEESA_SA_NS4_14no_stencil_tagE13saxpy_functorNS4_21always_true_predicateEEElLj1EEEvT0_T1_SG_.uses_flat_scratch, 0
	.set _ZN6thrust23THRUST_200600_302600_NS11hip_rocprim14__parallel_for6kernelILj256ENS1_11__transform18binary_transform_fINS0_6detail15normal_iteratorINS0_10device_ptrIfEEEESA_SA_NS4_14no_stencil_tagE13saxpy_functorNS4_21always_true_predicateEEElLj1EEEvT0_T1_SG_.has_dyn_sized_stack, 0
	.set _ZN6thrust23THRUST_200600_302600_NS11hip_rocprim14__parallel_for6kernelILj256ENS1_11__transform18binary_transform_fINS0_6detail15normal_iteratorINS0_10device_ptrIfEEEESA_SA_NS4_14no_stencil_tagE13saxpy_functorNS4_21always_true_predicateEEElLj1EEEvT0_T1_SG_.has_recursion, 0
	.set _ZN6thrust23THRUST_200600_302600_NS11hip_rocprim14__parallel_for6kernelILj256ENS1_11__transform18binary_transform_fINS0_6detail15normal_iteratorINS0_10device_ptrIfEEEESA_SA_NS4_14no_stencil_tagE13saxpy_functorNS4_21always_true_predicateEEElLj1EEEvT0_T1_SG_.has_indirect_call, 0
	.section	.AMDGPU.csdata,"",@progbits
; Kernel info:
; codeLenInByte = 332
; TotalNumSgprs: 13
; NumVgprs: 9
; ScratchSize: 0
; MemoryBound: 0
; FloatMode: 240
; IeeeMode: 1
; LDSByteSize: 0 bytes/workgroup (compile time only)
; SGPRBlocks: 0
; VGPRBlocks: 0
; NumSGPRsForWavesPerEU: 13
; NumVGPRsForWavesPerEU: 9
; NamedBarCnt: 0
; Occupancy: 16
; WaveLimiterHint : 0
; COMPUTE_PGM_RSRC2:SCRATCH_EN: 0
; COMPUTE_PGM_RSRC2:USER_SGPR: 2
; COMPUTE_PGM_RSRC2:TRAP_HANDLER: 0
; COMPUTE_PGM_RSRC2:TGID_X_EN: 1
; COMPUTE_PGM_RSRC2:TGID_Y_EN: 0
; COMPUTE_PGM_RSRC2:TGID_Z_EN: 0
; COMPUTE_PGM_RSRC2:TIDIG_COMP_CNT: 0
	.section	.text._ZN6thrust23THRUST_200600_302600_NS11hip_rocprim14__parallel_for6kernelILj256ENS1_11__transform18binary_transform_fINS0_6detail15normal_iteratorINS0_10device_ptrIfEEEESA_SA_NS4_14no_stencil_tagENS6_10functional5actorINSC_9compositeIJNSC_27transparent_binary_operatorINS0_4plusIvEEEENSD_INSE_IJNSF_INS0_10multipliesIvEEEENSC_5valueIfEENSD_INSC_8argumentILj0EEEEEEEEEENSD_INSO_ILj1EEEEEEEEEENS4_21always_true_predicateEEElLj1EEEvT0_T1_S10_,"axG",@progbits,_ZN6thrust23THRUST_200600_302600_NS11hip_rocprim14__parallel_for6kernelILj256ENS1_11__transform18binary_transform_fINS0_6detail15normal_iteratorINS0_10device_ptrIfEEEESA_SA_NS4_14no_stencil_tagENS6_10functional5actorINSC_9compositeIJNSC_27transparent_binary_operatorINS0_4plusIvEEEENSD_INSE_IJNSF_INS0_10multipliesIvEEEENSC_5valueIfEENSD_INSC_8argumentILj0EEEEEEEEEENSD_INSO_ILj1EEEEEEEEEENS4_21always_true_predicateEEElLj1EEEvT0_T1_S10_,comdat
	.protected	_ZN6thrust23THRUST_200600_302600_NS11hip_rocprim14__parallel_for6kernelILj256ENS1_11__transform18binary_transform_fINS0_6detail15normal_iteratorINS0_10device_ptrIfEEEESA_SA_NS4_14no_stencil_tagENS6_10functional5actorINSC_9compositeIJNSC_27transparent_binary_operatorINS0_4plusIvEEEENSD_INSE_IJNSF_INS0_10multipliesIvEEEENSC_5valueIfEENSD_INSC_8argumentILj0EEEEEEEEEENSD_INSO_ILj1EEEEEEEEEENS4_21always_true_predicateEEElLj1EEEvT0_T1_S10_ ; -- Begin function _ZN6thrust23THRUST_200600_302600_NS11hip_rocprim14__parallel_for6kernelILj256ENS1_11__transform18binary_transform_fINS0_6detail15normal_iteratorINS0_10device_ptrIfEEEESA_SA_NS4_14no_stencil_tagENS6_10functional5actorINSC_9compositeIJNSC_27transparent_binary_operatorINS0_4plusIvEEEENSD_INSE_IJNSF_INS0_10multipliesIvEEEENSC_5valueIfEENSD_INSC_8argumentILj0EEEEEEEEEENSD_INSO_ILj1EEEEEEEEEENS4_21always_true_predicateEEElLj1EEEvT0_T1_S10_
	.globl	_ZN6thrust23THRUST_200600_302600_NS11hip_rocprim14__parallel_for6kernelILj256ENS1_11__transform18binary_transform_fINS0_6detail15normal_iteratorINS0_10device_ptrIfEEEESA_SA_NS4_14no_stencil_tagENS6_10functional5actorINSC_9compositeIJNSC_27transparent_binary_operatorINS0_4plusIvEEEENSD_INSE_IJNSF_INS0_10multipliesIvEEEENSC_5valueIfEENSD_INSC_8argumentILj0EEEEEEEEEENSD_INSO_ILj1EEEEEEEEEENS4_21always_true_predicateEEElLj1EEEvT0_T1_S10_
	.p2align	8
	.type	_ZN6thrust23THRUST_200600_302600_NS11hip_rocprim14__parallel_for6kernelILj256ENS1_11__transform18binary_transform_fINS0_6detail15normal_iteratorINS0_10device_ptrIfEEEESA_SA_NS4_14no_stencil_tagENS6_10functional5actorINSC_9compositeIJNSC_27transparent_binary_operatorINS0_4plusIvEEEENSD_INSE_IJNSF_INS0_10multipliesIvEEEENSC_5valueIfEENSD_INSC_8argumentILj0EEEEEEEEEENSD_INSO_ILj1EEEEEEEEEENS4_21always_true_predicateEEElLj1EEEvT0_T1_S10_,@function
_ZN6thrust23THRUST_200600_302600_NS11hip_rocprim14__parallel_for6kernelILj256ENS1_11__transform18binary_transform_fINS0_6detail15normal_iteratorINS0_10device_ptrIfEEEESA_SA_NS4_14no_stencil_tagENS6_10functional5actorINSC_9compositeIJNSC_27transparent_binary_operatorINS0_4plusIvEEEENSD_INSE_IJNSF_INS0_10multipliesIvEEEENSC_5valueIfEENSD_INSC_8argumentILj0EEEEEEEEEENSD_INSO_ILj1EEEEEEEEEENS4_21always_true_predicateEEElLj1EEEvT0_T1_S10_: ; @_ZN6thrust23THRUST_200600_302600_NS11hip_rocprim14__parallel_for6kernelILj256ENS1_11__transform18binary_transform_fINS0_6detail15normal_iteratorINS0_10device_ptrIfEEEESA_SA_NS4_14no_stencil_tagENS6_10functional5actorINSC_9compositeIJNSC_27transparent_binary_operatorINS0_4plusIvEEEENSD_INSE_IJNSF_INS0_10multipliesIvEEEENSC_5valueIfEENSD_INSC_8argumentILj0EEEEEEEEEENSD_INSO_ILj1EEEEEEEEEENS4_21always_true_predicateEEElLj1EEEvT0_T1_S10_
; %bb.0:
	s_load_b128 s[4:7], s[0:1], 0x30
	s_bfe_u32 s2, ttmp6, 0x4000c
	s_and_b32 s3, ttmp6, 15
	s_add_co_i32 s2, s2, 1
	s_getreg_b32 s8, hwreg(HW_REG_IB_STS2, 6, 4)
	s_mul_i32 s2, ttmp9, s2
	s_delay_alu instid0(SALU_CYCLE_1)
	s_add_co_i32 s3, s3, s2
	s_cmp_eq_u32 s8, 0
	s_cselect_b32 s2, ttmp9, s3
	s_mov_b32 s3, 0
	s_lshl_b32 s2, s2, 8
	s_wait_kmcnt 0x0
	s_add_nc_u64 s[8:9], s[6:7], s[2:3]
	s_delay_alu instid0(SALU_CYCLE_1) | instskip(NEXT) | instid1(SALU_CYCLE_1)
	s_sub_nc_u64 s[2:3], s[4:5], s[8:9]
	v_min_i64 v[2:3], 0x100, s[2:3]
	s_clause 0x2
	s_load_b32 s10, s[0:1], 0x20
	s_load_b128 s[4:7], s[0:1], 0x0
	s_load_b64 s[2:3], s[0:1], 0x10
	s_wait_xcnt 0x0
	s_mov_b32 s0, -1
	s_delay_alu instid0(VALU_DEP_1)
	v_cmp_eq_u32_e32 vcc_lo, 0x100, v2
	s_cbranch_vccz .LBB1_3
; %bb.1:
	s_and_not1_b32 vcc_lo, exec_lo, s0
	s_cbranch_vccz .LBB1_6
.LBB1_2:
	s_endpgm
.LBB1_3:
	s_mov_b32 s0, exec_lo
	v_cmpx_lt_u32_e64 v0, v2
	s_cbranch_execz .LBB1_5
; %bb.4:
	v_mov_b32_e32 v1, 0
	s_delay_alu instid0(VALU_DEP_1) | instskip(NEXT) | instid1(VALU_DEP_1)
	v_add_nc_u64_e32 v[2:3], s[8:9], v[0:1]
	v_lshlrev_b64_e32 v[2:3], 2, v[2:3]
	s_wait_kmcnt 0x0
	s_delay_alu instid0(VALU_DEP_1)
	v_add_nc_u64_e32 v[4:5], s[4:5], v[2:3]
	v_add_nc_u64_e32 v[6:7], s[6:7], v[2:3]
	v_add_nc_u64_e32 v[2:3], s[2:3], v[2:3]
	flat_load_b32 v1, v[4:5]
	flat_load_b32 v8, v[6:7]
	s_wait_loadcnt_dscnt 0x0
	v_fmac_f32_e32 v8, s10, v1
	flat_store_b32 v[2:3], v8
.LBB1_5:
	s_wait_xcnt 0x0
	s_or_b32 exec_lo, exec_lo, s0
	s_cbranch_execnz .LBB1_2
.LBB1_6:
	v_mov_b32_e32 v1, 0
	s_delay_alu instid0(VALU_DEP_1) | instskip(NEXT) | instid1(VALU_DEP_1)
	v_add_nc_u64_e32 v[0:1], s[8:9], v[0:1]
	v_lshlrev_b64_e32 v[0:1], 2, v[0:1]
	s_wait_kmcnt 0x0
	s_delay_alu instid0(VALU_DEP_1)
	v_add_nc_u64_e32 v[2:3], s[4:5], v[0:1]
	v_add_nc_u64_e32 v[4:5], s[6:7], v[0:1]
	;; [unrolled: 1-line block ×3, first 2 shown]
	flat_load_b32 v6, v[2:3]
	flat_load_b32 v7, v[4:5]
	s_wait_loadcnt_dscnt 0x0
	v_fmac_f32_e32 v7, s10, v6
	flat_store_b32 v[0:1], v7
	s_endpgm
	.section	.rodata,"a",@progbits
	.p2align	6, 0x0
	.amdhsa_kernel _ZN6thrust23THRUST_200600_302600_NS11hip_rocprim14__parallel_for6kernelILj256ENS1_11__transform18binary_transform_fINS0_6detail15normal_iteratorINS0_10device_ptrIfEEEESA_SA_NS4_14no_stencil_tagENS6_10functional5actorINSC_9compositeIJNSC_27transparent_binary_operatorINS0_4plusIvEEEENSD_INSE_IJNSF_INS0_10multipliesIvEEEENSC_5valueIfEENSD_INSC_8argumentILj0EEEEEEEEEENSD_INSO_ILj1EEEEEEEEEENS4_21always_true_predicateEEElLj1EEEvT0_T1_S10_
		.amdhsa_group_segment_fixed_size 0
		.amdhsa_private_segment_fixed_size 0
		.amdhsa_kernarg_size 64
		.amdhsa_user_sgpr_count 2
		.amdhsa_user_sgpr_dispatch_ptr 0
		.amdhsa_user_sgpr_queue_ptr 0
		.amdhsa_user_sgpr_kernarg_segment_ptr 1
		.amdhsa_user_sgpr_dispatch_id 0
		.amdhsa_user_sgpr_kernarg_preload_length 0
		.amdhsa_user_sgpr_kernarg_preload_offset 0
		.amdhsa_user_sgpr_private_segment_size 0
		.amdhsa_wavefront_size32 1
		.amdhsa_uses_dynamic_stack 0
		.amdhsa_enable_private_segment 0
		.amdhsa_system_sgpr_workgroup_id_x 1
		.amdhsa_system_sgpr_workgroup_id_y 0
		.amdhsa_system_sgpr_workgroup_id_z 0
		.amdhsa_system_sgpr_workgroup_info 0
		.amdhsa_system_vgpr_workitem_id 0
		.amdhsa_next_free_vgpr 9
		.amdhsa_next_free_sgpr 11
		.amdhsa_named_barrier_count 0
		.amdhsa_reserve_vcc 1
		.amdhsa_float_round_mode_32 0
		.amdhsa_float_round_mode_16_64 0
		.amdhsa_float_denorm_mode_32 3
		.amdhsa_float_denorm_mode_16_64 3
		.amdhsa_fp16_overflow 0
		.amdhsa_memory_ordered 1
		.amdhsa_forward_progress 1
		.amdhsa_inst_pref_size 3
		.amdhsa_round_robin_scheduling 0
		.amdhsa_exception_fp_ieee_invalid_op 0
		.amdhsa_exception_fp_denorm_src 0
		.amdhsa_exception_fp_ieee_div_zero 0
		.amdhsa_exception_fp_ieee_overflow 0
		.amdhsa_exception_fp_ieee_underflow 0
		.amdhsa_exception_fp_ieee_inexact 0
		.amdhsa_exception_int_div_zero 0
	.end_amdhsa_kernel
	.section	.text._ZN6thrust23THRUST_200600_302600_NS11hip_rocprim14__parallel_for6kernelILj256ENS1_11__transform18binary_transform_fINS0_6detail15normal_iteratorINS0_10device_ptrIfEEEESA_SA_NS4_14no_stencil_tagENS6_10functional5actorINSC_9compositeIJNSC_27transparent_binary_operatorINS0_4plusIvEEEENSD_INSE_IJNSF_INS0_10multipliesIvEEEENSC_5valueIfEENSD_INSC_8argumentILj0EEEEEEEEEENSD_INSO_ILj1EEEEEEEEEENS4_21always_true_predicateEEElLj1EEEvT0_T1_S10_,"axG",@progbits,_ZN6thrust23THRUST_200600_302600_NS11hip_rocprim14__parallel_for6kernelILj256ENS1_11__transform18binary_transform_fINS0_6detail15normal_iteratorINS0_10device_ptrIfEEEESA_SA_NS4_14no_stencil_tagENS6_10functional5actorINSC_9compositeIJNSC_27transparent_binary_operatorINS0_4plusIvEEEENSD_INSE_IJNSF_INS0_10multipliesIvEEEENSC_5valueIfEENSD_INSC_8argumentILj0EEEEEEEEEENSD_INSO_ILj1EEEEEEEEEENS4_21always_true_predicateEEElLj1EEEvT0_T1_S10_,comdat
.Lfunc_end1:
	.size	_ZN6thrust23THRUST_200600_302600_NS11hip_rocprim14__parallel_for6kernelILj256ENS1_11__transform18binary_transform_fINS0_6detail15normal_iteratorINS0_10device_ptrIfEEEESA_SA_NS4_14no_stencil_tagENS6_10functional5actorINSC_9compositeIJNSC_27transparent_binary_operatorINS0_4plusIvEEEENSD_INSE_IJNSF_INS0_10multipliesIvEEEENSC_5valueIfEENSD_INSC_8argumentILj0EEEEEEEEEENSD_INSO_ILj1EEEEEEEEEENS4_21always_true_predicateEEElLj1EEEvT0_T1_S10_, .Lfunc_end1-_ZN6thrust23THRUST_200600_302600_NS11hip_rocprim14__parallel_for6kernelILj256ENS1_11__transform18binary_transform_fINS0_6detail15normal_iteratorINS0_10device_ptrIfEEEESA_SA_NS4_14no_stencil_tagENS6_10functional5actorINSC_9compositeIJNSC_27transparent_binary_operatorINS0_4plusIvEEEENSD_INSE_IJNSF_INS0_10multipliesIvEEEENSC_5valueIfEENSD_INSC_8argumentILj0EEEEEEEEEENSD_INSO_ILj1EEEEEEEEEENS4_21always_true_predicateEEElLj1EEEvT0_T1_S10_
                                        ; -- End function
	.set _ZN6thrust23THRUST_200600_302600_NS11hip_rocprim14__parallel_for6kernelILj256ENS1_11__transform18binary_transform_fINS0_6detail15normal_iteratorINS0_10device_ptrIfEEEESA_SA_NS4_14no_stencil_tagENS6_10functional5actorINSC_9compositeIJNSC_27transparent_binary_operatorINS0_4plusIvEEEENSD_INSE_IJNSF_INS0_10multipliesIvEEEENSC_5valueIfEENSD_INSC_8argumentILj0EEEEEEEEEENSD_INSO_ILj1EEEEEEEEEENS4_21always_true_predicateEEElLj1EEEvT0_T1_S10_.num_vgpr, 9
	.set _ZN6thrust23THRUST_200600_302600_NS11hip_rocprim14__parallel_for6kernelILj256ENS1_11__transform18binary_transform_fINS0_6detail15normal_iteratorINS0_10device_ptrIfEEEESA_SA_NS4_14no_stencil_tagENS6_10functional5actorINSC_9compositeIJNSC_27transparent_binary_operatorINS0_4plusIvEEEENSD_INSE_IJNSF_INS0_10multipliesIvEEEENSC_5valueIfEENSD_INSC_8argumentILj0EEEEEEEEEENSD_INSO_ILj1EEEEEEEEEENS4_21always_true_predicateEEElLj1EEEvT0_T1_S10_.num_agpr, 0
	.set _ZN6thrust23THRUST_200600_302600_NS11hip_rocprim14__parallel_for6kernelILj256ENS1_11__transform18binary_transform_fINS0_6detail15normal_iteratorINS0_10device_ptrIfEEEESA_SA_NS4_14no_stencil_tagENS6_10functional5actorINSC_9compositeIJNSC_27transparent_binary_operatorINS0_4plusIvEEEENSD_INSE_IJNSF_INS0_10multipliesIvEEEENSC_5valueIfEENSD_INSC_8argumentILj0EEEEEEEEEENSD_INSO_ILj1EEEEEEEEEENS4_21always_true_predicateEEElLj1EEEvT0_T1_S10_.numbered_sgpr, 11
	.set _ZN6thrust23THRUST_200600_302600_NS11hip_rocprim14__parallel_for6kernelILj256ENS1_11__transform18binary_transform_fINS0_6detail15normal_iteratorINS0_10device_ptrIfEEEESA_SA_NS4_14no_stencil_tagENS6_10functional5actorINSC_9compositeIJNSC_27transparent_binary_operatorINS0_4plusIvEEEENSD_INSE_IJNSF_INS0_10multipliesIvEEEENSC_5valueIfEENSD_INSC_8argumentILj0EEEEEEEEEENSD_INSO_ILj1EEEEEEEEEENS4_21always_true_predicateEEElLj1EEEvT0_T1_S10_.num_named_barrier, 0
	.set _ZN6thrust23THRUST_200600_302600_NS11hip_rocprim14__parallel_for6kernelILj256ENS1_11__transform18binary_transform_fINS0_6detail15normal_iteratorINS0_10device_ptrIfEEEESA_SA_NS4_14no_stencil_tagENS6_10functional5actorINSC_9compositeIJNSC_27transparent_binary_operatorINS0_4plusIvEEEENSD_INSE_IJNSF_INS0_10multipliesIvEEEENSC_5valueIfEENSD_INSC_8argumentILj0EEEEEEEEEENSD_INSO_ILj1EEEEEEEEEENS4_21always_true_predicateEEElLj1EEEvT0_T1_S10_.private_seg_size, 0
	.set _ZN6thrust23THRUST_200600_302600_NS11hip_rocprim14__parallel_for6kernelILj256ENS1_11__transform18binary_transform_fINS0_6detail15normal_iteratorINS0_10device_ptrIfEEEESA_SA_NS4_14no_stencil_tagENS6_10functional5actorINSC_9compositeIJNSC_27transparent_binary_operatorINS0_4plusIvEEEENSD_INSE_IJNSF_INS0_10multipliesIvEEEENSC_5valueIfEENSD_INSC_8argumentILj0EEEEEEEEEENSD_INSO_ILj1EEEEEEEEEENS4_21always_true_predicateEEElLj1EEEvT0_T1_S10_.uses_vcc, 1
	.set _ZN6thrust23THRUST_200600_302600_NS11hip_rocprim14__parallel_for6kernelILj256ENS1_11__transform18binary_transform_fINS0_6detail15normal_iteratorINS0_10device_ptrIfEEEESA_SA_NS4_14no_stencil_tagENS6_10functional5actorINSC_9compositeIJNSC_27transparent_binary_operatorINS0_4plusIvEEEENSD_INSE_IJNSF_INS0_10multipliesIvEEEENSC_5valueIfEENSD_INSC_8argumentILj0EEEEEEEEEENSD_INSO_ILj1EEEEEEEEEENS4_21always_true_predicateEEElLj1EEEvT0_T1_S10_.uses_flat_scratch, 0
	.set _ZN6thrust23THRUST_200600_302600_NS11hip_rocprim14__parallel_for6kernelILj256ENS1_11__transform18binary_transform_fINS0_6detail15normal_iteratorINS0_10device_ptrIfEEEESA_SA_NS4_14no_stencil_tagENS6_10functional5actorINSC_9compositeIJNSC_27transparent_binary_operatorINS0_4plusIvEEEENSD_INSE_IJNSF_INS0_10multipliesIvEEEENSC_5valueIfEENSD_INSC_8argumentILj0EEEEEEEEEENSD_INSO_ILj1EEEEEEEEEENS4_21always_true_predicateEEElLj1EEEvT0_T1_S10_.has_dyn_sized_stack, 0
	.set _ZN6thrust23THRUST_200600_302600_NS11hip_rocprim14__parallel_for6kernelILj256ENS1_11__transform18binary_transform_fINS0_6detail15normal_iteratorINS0_10device_ptrIfEEEESA_SA_NS4_14no_stencil_tagENS6_10functional5actorINSC_9compositeIJNSC_27transparent_binary_operatorINS0_4plusIvEEEENSD_INSE_IJNSF_INS0_10multipliesIvEEEENSC_5valueIfEENSD_INSC_8argumentILj0EEEEEEEEEENSD_INSO_ILj1EEEEEEEEEENS4_21always_true_predicateEEElLj1EEEvT0_T1_S10_.has_recursion, 0
	.set _ZN6thrust23THRUST_200600_302600_NS11hip_rocprim14__parallel_for6kernelILj256ENS1_11__transform18binary_transform_fINS0_6detail15normal_iteratorINS0_10device_ptrIfEEEESA_SA_NS4_14no_stencil_tagENS6_10functional5actorINSC_9compositeIJNSC_27transparent_binary_operatorINS0_4plusIvEEEENSD_INSE_IJNSF_INS0_10multipliesIvEEEENSC_5valueIfEENSD_INSC_8argumentILj0EEEEEEEEEENSD_INSO_ILj1EEEEEEEEEENS4_21always_true_predicateEEElLj1EEEvT0_T1_S10_.has_indirect_call, 0
	.section	.AMDGPU.csdata,"",@progbits
; Kernel info:
; codeLenInByte = 340
; TotalNumSgprs: 13
; NumVgprs: 9
; ScratchSize: 0
; MemoryBound: 0
; FloatMode: 240
; IeeeMode: 1
; LDSByteSize: 0 bytes/workgroup (compile time only)
; SGPRBlocks: 0
; VGPRBlocks: 0
; NumSGPRsForWavesPerEU: 13
; NumVGPRsForWavesPerEU: 9
; NamedBarCnt: 0
; Occupancy: 16
; WaveLimiterHint : 0
; COMPUTE_PGM_RSRC2:SCRATCH_EN: 0
; COMPUTE_PGM_RSRC2:USER_SGPR: 2
; COMPUTE_PGM_RSRC2:TRAP_HANDLER: 0
; COMPUTE_PGM_RSRC2:TGID_X_EN: 1
; COMPUTE_PGM_RSRC2:TGID_Y_EN: 0
; COMPUTE_PGM_RSRC2:TGID_Z_EN: 0
; COMPUTE_PGM_RSRC2:TIDIG_COMP_CNT: 0
	.section	.AMDGPU.gpr_maximums,"",@progbits
	.set amdgpu.max_num_vgpr, 0
	.set amdgpu.max_num_agpr, 0
	.set amdgpu.max_num_sgpr, 0
	.section	.AMDGPU.csdata,"",@progbits
	.type	__hip_cuid_577c255f12aa3c02,@object ; @__hip_cuid_577c255f12aa3c02
	.section	.bss,"aw",@nobits
	.globl	__hip_cuid_577c255f12aa3c02
__hip_cuid_577c255f12aa3c02:
	.byte	0                               ; 0x0
	.size	__hip_cuid_577c255f12aa3c02, 1

	.ident	"AMD clang version 22.0.0git (https://github.com/RadeonOpenCompute/llvm-project roc-7.2.4 26084 f58b06dce1f9c15707c5f808fd002e18c2accf7e)"
	.section	".note.GNU-stack","",@progbits
	.addrsig
	.addrsig_sym __hip_cuid_577c255f12aa3c02
	.amdgpu_metadata
---
amdhsa.kernels:
  - .args:
      - .offset:         0
        .size:           32
        .value_kind:     by_value
      - .offset:         32
        .size:           8
        .value_kind:     by_value
      - .offset:         40
        .size:           8
        .value_kind:     by_value
    .group_segment_fixed_size: 0
    .kernarg_segment_align: 8
    .kernarg_segment_size: 48
    .language:       OpenCL C
    .language_version:
      - 2
      - 0
    .max_flat_workgroup_size: 256
    .name:           _ZN6thrust23THRUST_200600_302600_NS11hip_rocprim14__parallel_for6kernelILj256ENS1_11__transform18binary_transform_fINS0_6detail15normal_iteratorINS0_10device_ptrIfEEEESA_SA_NS4_14no_stencil_tagE13saxpy_functorNS4_21always_true_predicateEEElLj1EEEvT0_T1_SG_
    .private_segment_fixed_size: 0
    .sgpr_count:     13
    .sgpr_spill_count: 0
    .symbol:         _ZN6thrust23THRUST_200600_302600_NS11hip_rocprim14__parallel_for6kernelILj256ENS1_11__transform18binary_transform_fINS0_6detail15normal_iteratorINS0_10device_ptrIfEEEESA_SA_NS4_14no_stencil_tagE13saxpy_functorNS4_21always_true_predicateEEElLj1EEEvT0_T1_SG_.kd
    .uniform_work_group_size: 1
    .uses_dynamic_stack: false
    .vgpr_count:     9
    .vgpr_spill_count: 0
    .wavefront_size: 32
  - .args:
      - .offset:         0
        .size:           48
        .value_kind:     by_value
      - .offset:         48
        .size:           8
        .value_kind:     by_value
      - .offset:         56
        .size:           8
        .value_kind:     by_value
    .group_segment_fixed_size: 0
    .kernarg_segment_align: 8
    .kernarg_segment_size: 64
    .language:       OpenCL C
    .language_version:
      - 2
      - 0
    .max_flat_workgroup_size: 256
    .name:           _ZN6thrust23THRUST_200600_302600_NS11hip_rocprim14__parallel_for6kernelILj256ENS1_11__transform18binary_transform_fINS0_6detail15normal_iteratorINS0_10device_ptrIfEEEESA_SA_NS4_14no_stencil_tagENS6_10functional5actorINSC_9compositeIJNSC_27transparent_binary_operatorINS0_4plusIvEEEENSD_INSE_IJNSF_INS0_10multipliesIvEEEENSC_5valueIfEENSD_INSC_8argumentILj0EEEEEEEEEENSD_INSO_ILj1EEEEEEEEEENS4_21always_true_predicateEEElLj1EEEvT0_T1_S10_
    .private_segment_fixed_size: 0
    .sgpr_count:     13
    .sgpr_spill_count: 0
    .symbol:         _ZN6thrust23THRUST_200600_302600_NS11hip_rocprim14__parallel_for6kernelILj256ENS1_11__transform18binary_transform_fINS0_6detail15normal_iteratorINS0_10device_ptrIfEEEESA_SA_NS4_14no_stencil_tagENS6_10functional5actorINSC_9compositeIJNSC_27transparent_binary_operatorINS0_4plusIvEEEENSD_INSE_IJNSF_INS0_10multipliesIvEEEENSC_5valueIfEENSD_INSC_8argumentILj0EEEEEEEEEENSD_INSO_ILj1EEEEEEEEEENS4_21always_true_predicateEEElLj1EEEvT0_T1_S10_.kd
    .uniform_work_group_size: 1
    .uses_dynamic_stack: false
    .vgpr_count:     9
    .vgpr_spill_count: 0
    .wavefront_size: 32
amdhsa.target:   amdgcn-amd-amdhsa--gfx1250
amdhsa.version:
  - 1
  - 2
...

	.end_amdgpu_metadata
